;; amdgpu-corpus repo=ROCm/rocFFT kind=compiled arch=gfx1201 opt=O3
	.text
	.amdgcn_target "amdgcn-amd-amdhsa--gfx1201"
	.amdhsa_code_object_version 6
	.protected	fft_rtc_fwd_len288_factors_6_6_4_2_wgs_120_tpt_24_halfLds_dp_ip_CI_unitstride_sbrr_C2R_dirReg ; -- Begin function fft_rtc_fwd_len288_factors_6_6_4_2_wgs_120_tpt_24_halfLds_dp_ip_CI_unitstride_sbrr_C2R_dirReg
	.globl	fft_rtc_fwd_len288_factors_6_6_4_2_wgs_120_tpt_24_halfLds_dp_ip_CI_unitstride_sbrr_C2R_dirReg
	.p2align	8
	.type	fft_rtc_fwd_len288_factors_6_6_4_2_wgs_120_tpt_24_halfLds_dp_ip_CI_unitstride_sbrr_C2R_dirReg,@function
fft_rtc_fwd_len288_factors_6_6_4_2_wgs_120_tpt_24_halfLds_dp_ip_CI_unitstride_sbrr_C2R_dirReg: ; @fft_rtc_fwd_len288_factors_6_6_4_2_wgs_120_tpt_24_halfLds_dp_ip_CI_unitstride_sbrr_C2R_dirReg
; %bb.0:
	s_load_b128 s[4:7], s[0:1], 0x0
	v_mul_u32_u24_e32 v1, 0xaab, v0
	s_clause 0x1
	s_load_b64 s[8:9], s[0:1], 0x50
	s_load_b64 s[10:11], s[0:1], 0x18
	v_mov_b32_e32 v5, 0
	v_lshrrev_b32_e32 v1, 16, v1
	s_delay_alu instid0(VALU_DEP_1) | instskip(SKIP_3) | instid1(VALU_DEP_1)
	v_mad_co_u64_u32 v[1:2], null, ttmp9, 5, v[1:2]
	v_mov_b32_e32 v3, 0
	v_mov_b32_e32 v4, 0
	;; [unrolled: 1-line block ×3, first 2 shown]
	v_dual_mov_b32 v11, v2 :: v_dual_mov_b32 v10, v1
	s_wait_kmcnt 0x0
	v_cmp_lt_u64_e64 s2, s[6:7], 2
	s_delay_alu instid0(VALU_DEP_1)
	s_and_b32 vcc_lo, exec_lo, s2
	s_cbranch_vccnz .LBB0_8
; %bb.1:
	s_load_b64 s[2:3], s[0:1], 0x10
	v_dual_mov_b32 v3, 0 :: v_dual_mov_b32 v8, v2
	v_dual_mov_b32 v4, 0 :: v_dual_mov_b32 v7, v1
	s_add_nc_u64 s[12:13], s[10:11], 8
	s_mov_b64 s[14:15], 1
	s_wait_kmcnt 0x0
	s_add_nc_u64 s[16:17], s[2:3], 8
	s_mov_b32 s3, 0
.LBB0_2:                                ; =>This Inner Loop Header: Depth=1
	s_load_b64 s[18:19], s[16:17], 0x0
                                        ; implicit-def: $vgpr10_vgpr11
	s_mov_b32 s2, exec_lo
	s_wait_kmcnt 0x0
	v_or_b32_e32 v6, s19, v8
	s_delay_alu instid0(VALU_DEP_1)
	v_cmpx_ne_u64_e32 0, v[5:6]
	s_wait_alu 0xfffe
	s_xor_b32 s20, exec_lo, s2
	s_cbranch_execz .LBB0_4
; %bb.3:                                ;   in Loop: Header=BB0_2 Depth=1
	s_cvt_f32_u32 s2, s18
	s_cvt_f32_u32 s21, s19
	s_sub_nc_u64 s[24:25], 0, s[18:19]
	s_wait_alu 0xfffe
	s_delay_alu instid0(SALU_CYCLE_1) | instskip(SKIP_1) | instid1(SALU_CYCLE_2)
	s_fmamk_f32 s2, s21, 0x4f800000, s2
	s_wait_alu 0xfffe
	v_s_rcp_f32 s2, s2
	s_delay_alu instid0(TRANS32_DEP_1) | instskip(SKIP_1) | instid1(SALU_CYCLE_2)
	s_mul_f32 s2, s2, 0x5f7ffffc
	s_wait_alu 0xfffe
	s_mul_f32 s21, s2, 0x2f800000
	s_wait_alu 0xfffe
	s_delay_alu instid0(SALU_CYCLE_2) | instskip(SKIP_1) | instid1(SALU_CYCLE_2)
	s_trunc_f32 s21, s21
	s_wait_alu 0xfffe
	s_fmamk_f32 s2, s21, 0xcf800000, s2
	s_cvt_u32_f32 s23, s21
	s_wait_alu 0xfffe
	s_delay_alu instid0(SALU_CYCLE_1) | instskip(SKIP_1) | instid1(SALU_CYCLE_2)
	s_cvt_u32_f32 s22, s2
	s_wait_alu 0xfffe
	s_mul_u64 s[26:27], s[24:25], s[22:23]
	s_wait_alu 0xfffe
	s_mul_hi_u32 s29, s22, s27
	s_mul_i32 s28, s22, s27
	s_mul_hi_u32 s2, s22, s26
	s_mul_i32 s30, s23, s26
	s_wait_alu 0xfffe
	s_add_nc_u64 s[28:29], s[2:3], s[28:29]
	s_mul_hi_u32 s21, s23, s26
	s_mul_hi_u32 s31, s23, s27
	s_add_co_u32 s2, s28, s30
	s_wait_alu 0xfffe
	s_add_co_ci_u32 s2, s29, s21
	s_mul_i32 s26, s23, s27
	s_add_co_ci_u32 s27, s31, 0
	s_wait_alu 0xfffe
	s_add_nc_u64 s[26:27], s[2:3], s[26:27]
	s_wait_alu 0xfffe
	v_add_co_u32 v2, s2, s22, s26
	s_delay_alu instid0(VALU_DEP_1) | instskip(SKIP_1) | instid1(VALU_DEP_1)
	s_cmp_lg_u32 s2, 0
	s_add_co_ci_u32 s23, s23, s27
	v_readfirstlane_b32 s22, v2
	s_wait_alu 0xfffe
	s_delay_alu instid0(VALU_DEP_1)
	s_mul_u64 s[24:25], s[24:25], s[22:23]
	s_wait_alu 0xfffe
	s_mul_hi_u32 s27, s22, s25
	s_mul_i32 s26, s22, s25
	s_mul_hi_u32 s2, s22, s24
	s_mul_i32 s28, s23, s24
	s_wait_alu 0xfffe
	s_add_nc_u64 s[26:27], s[2:3], s[26:27]
	s_mul_hi_u32 s21, s23, s24
	s_mul_hi_u32 s22, s23, s25
	s_wait_alu 0xfffe
	s_add_co_u32 s2, s26, s28
	s_add_co_ci_u32 s2, s27, s21
	s_mul_i32 s24, s23, s25
	s_add_co_ci_u32 s25, s22, 0
	s_wait_alu 0xfffe
	s_add_nc_u64 s[24:25], s[2:3], s[24:25]
	s_wait_alu 0xfffe
	v_add_co_u32 v2, s2, v2, s24
	s_delay_alu instid0(VALU_DEP_1) | instskip(SKIP_1) | instid1(VALU_DEP_1)
	s_cmp_lg_u32 s2, 0
	s_add_co_ci_u32 s2, s23, s25
	v_mul_hi_u32 v6, v7, v2
	s_wait_alu 0xfffe
	v_mad_co_u64_u32 v[9:10], null, v7, s2, 0
	v_mad_co_u64_u32 v[11:12], null, v8, v2, 0
	;; [unrolled: 1-line block ×3, first 2 shown]
	s_delay_alu instid0(VALU_DEP_3) | instskip(SKIP_1) | instid1(VALU_DEP_4)
	v_add_co_u32 v2, vcc_lo, v6, v9
	s_wait_alu 0xfffd
	v_add_co_ci_u32_e32 v6, vcc_lo, 0, v10, vcc_lo
	s_delay_alu instid0(VALU_DEP_2) | instskip(SKIP_1) | instid1(VALU_DEP_2)
	v_add_co_u32 v2, vcc_lo, v2, v11
	s_wait_alu 0xfffd
	v_add_co_ci_u32_e32 v2, vcc_lo, v6, v12, vcc_lo
	s_wait_alu 0xfffd
	v_add_co_ci_u32_e32 v6, vcc_lo, 0, v14, vcc_lo
	s_delay_alu instid0(VALU_DEP_2) | instskip(SKIP_1) | instid1(VALU_DEP_2)
	v_add_co_u32 v2, vcc_lo, v2, v13
	s_wait_alu 0xfffd
	v_add_co_ci_u32_e32 v6, vcc_lo, 0, v6, vcc_lo
	s_delay_alu instid0(VALU_DEP_2) | instskip(SKIP_1) | instid1(VALU_DEP_3)
	v_mul_lo_u32 v11, s19, v2
	v_mad_co_u64_u32 v[9:10], null, s18, v2, 0
	v_mul_lo_u32 v12, s18, v6
	s_delay_alu instid0(VALU_DEP_2) | instskip(NEXT) | instid1(VALU_DEP_2)
	v_sub_co_u32 v9, vcc_lo, v7, v9
	v_add3_u32 v10, v10, v12, v11
	s_delay_alu instid0(VALU_DEP_1) | instskip(SKIP_1) | instid1(VALU_DEP_1)
	v_sub_nc_u32_e32 v11, v8, v10
	s_wait_alu 0xfffd
	v_subrev_co_ci_u32_e64 v11, s2, s19, v11, vcc_lo
	v_add_co_u32 v12, s2, v2, 2
	s_wait_alu 0xf1ff
	v_add_co_ci_u32_e64 v13, s2, 0, v6, s2
	v_sub_co_u32 v14, s2, v9, s18
	v_sub_co_ci_u32_e32 v10, vcc_lo, v8, v10, vcc_lo
	s_wait_alu 0xf1ff
	v_subrev_co_ci_u32_e64 v11, s2, 0, v11, s2
	s_delay_alu instid0(VALU_DEP_3) | instskip(NEXT) | instid1(VALU_DEP_3)
	v_cmp_le_u32_e32 vcc_lo, s18, v14
	v_cmp_eq_u32_e64 s2, s19, v10
	s_wait_alu 0xfffd
	v_cndmask_b32_e64 v14, 0, -1, vcc_lo
	v_cmp_le_u32_e32 vcc_lo, s19, v11
	s_wait_alu 0xfffd
	v_cndmask_b32_e64 v15, 0, -1, vcc_lo
	v_cmp_le_u32_e32 vcc_lo, s18, v9
	;; [unrolled: 3-line block ×3, first 2 shown]
	s_wait_alu 0xfffd
	v_cndmask_b32_e64 v16, 0, -1, vcc_lo
	v_cmp_eq_u32_e32 vcc_lo, s19, v11
	s_wait_alu 0xf1ff
	s_delay_alu instid0(VALU_DEP_2)
	v_cndmask_b32_e64 v9, v16, v9, s2
	s_wait_alu 0xfffd
	v_cndmask_b32_e32 v11, v15, v14, vcc_lo
	v_add_co_u32 v14, vcc_lo, v2, 1
	s_wait_alu 0xfffd
	v_add_co_ci_u32_e32 v15, vcc_lo, 0, v6, vcc_lo
	s_delay_alu instid0(VALU_DEP_3) | instskip(SKIP_2) | instid1(VALU_DEP_3)
	v_cmp_ne_u32_e32 vcc_lo, 0, v11
	s_wait_alu 0xfffd
	v_cndmask_b32_e32 v12, v14, v12, vcc_lo
	v_cndmask_b32_e32 v10, v15, v13, vcc_lo
	v_cmp_ne_u32_e32 vcc_lo, 0, v9
	s_wait_alu 0xfffd
	s_delay_alu instid0(VALU_DEP_2)
	v_cndmask_b32_e32 v11, v6, v10, vcc_lo
	v_cndmask_b32_e32 v10, v2, v12, vcc_lo
.LBB0_4:                                ;   in Loop: Header=BB0_2 Depth=1
	s_wait_alu 0xfffe
	s_and_not1_saveexec_b32 s2, s20
	s_cbranch_execz .LBB0_6
; %bb.5:                                ;   in Loop: Header=BB0_2 Depth=1
	v_cvt_f32_u32_e32 v2, s18
	s_sub_co_i32 s20, 0, s18
	v_mov_b32_e32 v11, v5
	s_delay_alu instid0(VALU_DEP_2) | instskip(NEXT) | instid1(TRANS32_DEP_1)
	v_rcp_iflag_f32_e32 v2, v2
	v_mul_f32_e32 v2, 0x4f7ffffe, v2
	s_delay_alu instid0(VALU_DEP_1) | instskip(SKIP_1) | instid1(VALU_DEP_1)
	v_cvt_u32_f32_e32 v2, v2
	s_wait_alu 0xfffe
	v_mul_lo_u32 v6, s20, v2
	s_delay_alu instid0(VALU_DEP_1) | instskip(NEXT) | instid1(VALU_DEP_1)
	v_mul_hi_u32 v6, v2, v6
	v_add_nc_u32_e32 v2, v2, v6
	s_delay_alu instid0(VALU_DEP_1) | instskip(NEXT) | instid1(VALU_DEP_1)
	v_mul_hi_u32 v2, v7, v2
	v_mul_lo_u32 v6, v2, s18
	v_add_nc_u32_e32 v9, 1, v2
	s_delay_alu instid0(VALU_DEP_2) | instskip(NEXT) | instid1(VALU_DEP_1)
	v_sub_nc_u32_e32 v6, v7, v6
	v_subrev_nc_u32_e32 v10, s18, v6
	v_cmp_le_u32_e32 vcc_lo, s18, v6
	s_wait_alu 0xfffd
	s_delay_alu instid0(VALU_DEP_2) | instskip(SKIP_1) | instid1(VALU_DEP_2)
	v_cndmask_b32_e32 v6, v6, v10, vcc_lo
	v_cndmask_b32_e32 v2, v2, v9, vcc_lo
	v_cmp_le_u32_e32 vcc_lo, s18, v6
	s_delay_alu instid0(VALU_DEP_2) | instskip(SKIP_1) | instid1(VALU_DEP_1)
	v_add_nc_u32_e32 v9, 1, v2
	s_wait_alu 0xfffd
	v_cndmask_b32_e32 v10, v2, v9, vcc_lo
.LBB0_6:                                ;   in Loop: Header=BB0_2 Depth=1
	s_wait_alu 0xfffe
	s_or_b32 exec_lo, exec_lo, s2
	s_load_b64 s[20:21], s[12:13], 0x0
	v_mul_lo_u32 v2, v11, s18
	v_mul_lo_u32 v6, v10, s19
	v_mad_co_u64_u32 v[12:13], null, v10, s18, 0
	s_add_nc_u64 s[14:15], s[14:15], 1
	s_add_nc_u64 s[12:13], s[12:13], 8
	s_wait_alu 0xfffe
	v_cmp_ge_u64_e64 s2, s[14:15], s[6:7]
	s_add_nc_u64 s[16:17], s[16:17], 8
	s_delay_alu instid0(VALU_DEP_2) | instskip(NEXT) | instid1(VALU_DEP_3)
	v_add3_u32 v2, v13, v6, v2
	v_sub_co_u32 v6, vcc_lo, v7, v12
	s_wait_alu 0xfffd
	s_delay_alu instid0(VALU_DEP_2) | instskip(SKIP_3) | instid1(VALU_DEP_2)
	v_sub_co_ci_u32_e32 v2, vcc_lo, v8, v2, vcc_lo
	s_and_b32 vcc_lo, exec_lo, s2
	s_wait_kmcnt 0x0
	v_mul_lo_u32 v7, s21, v6
	v_mul_lo_u32 v2, s20, v2
	v_mad_co_u64_u32 v[3:4], null, s20, v6, v[3:4]
	s_delay_alu instid0(VALU_DEP_1)
	v_add3_u32 v4, v7, v4, v2
	s_wait_alu 0xfffe
	s_cbranch_vccnz .LBB0_8
; %bb.7:                                ;   in Loop: Header=BB0_2 Depth=1
	v_dual_mov_b32 v7, v10 :: v_dual_mov_b32 v8, v11
	s_branch .LBB0_2
.LBB0_8:
	s_lshl_b64 s[2:3], s[6:7], 3
	v_mul_hi_u32 v2, 0xcccccccd, v1
	s_wait_alu 0xfffe
	s_add_nc_u64 s[2:3], s[10:11], s[2:3]
	s_load_b64 s[0:1], s[0:1], 0x20
	s_load_b64 s[2:3], s[2:3], 0x0
	v_mul_hi_u32 v5, 0xaaaaaab, v0
	s_delay_alu instid0(VALU_DEP_2) | instskip(NEXT) | instid1(VALU_DEP_1)
	v_lshrrev_b32_e32 v2, 2, v2
	v_lshl_add_u32 v6, v2, 2, v2
	s_delay_alu instid0(VALU_DEP_1)
	v_sub_nc_u32_e32 v1, v1, v6
	s_wait_kmcnt 0x0
	v_cmp_gt_u64_e32 vcc_lo, s[0:1], v[10:11]
	v_mul_lo_u32 v7, s2, v11
	v_mul_lo_u32 v8, s3, v10
	v_mad_co_u64_u32 v[2:3], null, s2, v10, v[3:4]
	v_mul_u32_u24_e32 v4, 24, v5
	v_mul_u32_u24_e32 v5, 0x121, v1
	s_delay_alu instid0(VALU_DEP_1) | instskip(NEXT) | instid1(VALU_DEP_4)
	v_dual_mov_b32 v9, 0 :: v_dual_lshlrev_b32 v16, 4, v5
	v_add3_u32 v3, v8, v3, v7
	s_delay_alu instid0(VALU_DEP_4) | instskip(NEXT) | instid1(VALU_DEP_2)
	v_sub_nc_u32_e32 v8, v0, v4
	v_lshlrev_b64_e32 v[6:7], 4, v[2:3]
	s_delay_alu instid0(VALU_DEP_2)
	v_mov_b32_e32 v4, v8
	s_and_saveexec_b32 s1, vcc_lo
	s_cbranch_execz .LBB0_12
; %bb.9:
	v_lshlrev_b64_e32 v[2:3], 4, v[8:9]
	s_delay_alu instid0(VALU_DEP_3) | instskip(SKIP_3) | instid1(VALU_DEP_2)
	v_add_co_u32 v0, s0, s8, v6
	s_wait_alu 0xf1ff
	v_add_co_ci_u32_e64 v1, s0, s9, v7, s0
	s_mov_b32 s2, exec_lo
	v_add_co_u32 v2, s0, v0, v2
	s_wait_alu 0xf1ff
	s_delay_alu instid0(VALU_DEP_2)
	v_add_co_ci_u32_e64 v3, s0, v1, v3, s0
	s_clause 0xb
	global_load_b128 v[10:13], v[2:3], off
	global_load_b128 v[17:20], v[2:3], off offset:384
	global_load_b128 v[21:24], v[2:3], off offset:768
	global_load_b128 v[25:28], v[2:3], off offset:1152
	global_load_b128 v[29:32], v[2:3], off offset:1536
	global_load_b128 v[33:36], v[2:3], off offset:1920
	global_load_b128 v[37:40], v[2:3], off offset:2304
	global_load_b128 v[41:44], v[2:3], off offset:2688
	global_load_b128 v[45:48], v[2:3], off offset:3072
	global_load_b128 v[49:52], v[2:3], off offset:3456
	global_load_b128 v[53:56], v[2:3], off offset:3840
	global_load_b128 v[57:60], v[2:3], off offset:4224
	v_lshlrev_b32_e32 v2, 4, v8
	s_delay_alu instid0(VALU_DEP_1)
	v_add3_u32 v4, 0, v16, v2
	v_dual_mov_b32 v2, v8 :: v_dual_mov_b32 v3, v9
	s_wait_loadcnt 0xb
	ds_store_b128 v4, v[10:13]
	s_wait_loadcnt 0xa
	ds_store_b128 v4, v[17:20] offset:384
	s_wait_loadcnt 0x9
	ds_store_b128 v4, v[21:24] offset:768
	;; [unrolled: 2-line block ×11, first 2 shown]
	v_cmpx_eq_u32_e32 23, v8
	s_cbranch_execz .LBB0_11
; %bb.10:
	global_load_b128 v[9:12], v[0:1], off offset:4608
	v_mov_b32_e32 v2, 23
	v_dual_mov_b32 v3, 0 :: v_dual_mov_b32 v8, 23
	s_wait_loadcnt 0x0
	ds_store_b128 v4, v[9:12] offset:4240
.LBB0_11:
	s_wait_alu 0xfffe
	s_or_b32 exec_lo, exec_lo, s2
	v_dual_mov_b32 v4, v8 :: v_dual_mov_b32 v9, v3
	v_mov_b32_e32 v8, v2
.LBB0_12:
	s_wait_alu 0xfffe
	s_or_b32 exec_lo, exec_lo, s1
	v_lshl_add_u32 v14, v5, 4, 0
	v_lshlrev_b32_e32 v17, 4, v4
	global_wb scope:SCOPE_SE
	s_wait_dscnt 0x0
	s_barrier_signal -1
	s_barrier_wait -1
	global_inv scope:SCOPE_SE
	v_add_nc_u32_e32 v15, v14, v17
	v_sub_nc_u32_e32 v18, v14, v17
	v_lshlrev_b64_e32 v[8:9], 4, v[8:9]
	s_mov_b32 s1, exec_lo
	ds_load_b64 v[10:11], v15
	ds_load_b64 v[12:13], v18 offset:4608
	s_wait_dscnt 0x0
	v_add_f64_e32 v[0:1], v[10:11], v[12:13]
	v_add_f64_e64 v[2:3], v[10:11], -v[12:13]
	v_cmpx_ne_u32_e32 0, v4
	s_wait_alu 0xfffe
	s_xor_b32 s1, exec_lo, s1
	s_cbranch_execz .LBB0_14
; %bb.13:
	v_add_co_u32 v0, s0, s4, v8
	s_wait_alu 0xf1ff
	v_add_co_ci_u32_e64 v1, s0, s5, v9, s0
	v_add_f64_e32 v[23:24], v[10:11], v[12:13]
	v_add_f64_e64 v[25:26], v[10:11], -v[12:13]
	global_load_b128 v[19:22], v[0:1], off offset:4512
	ds_load_b64 v[0:1], v18 offset:4616
	ds_load_b64 v[2:3], v15 offset:8
	s_wait_dscnt 0x0
	v_add_f64_e32 v[10:11], v[0:1], v[2:3]
	v_add_f64_e64 v[0:1], v[2:3], -v[0:1]
	s_wait_loadcnt 0x0
	v_fma_f64 v[2:3], v[25:26], v[21:22], v[23:24]
	v_fma_f64 v[12:13], -v[25:26], v[21:22], v[23:24]
	s_delay_alu instid0(VALU_DEP_3) | instskip(SKIP_1) | instid1(VALU_DEP_4)
	v_fma_f64 v[23:24], v[10:11], v[21:22], -v[0:1]
	v_fma_f64 v[21:22], v[10:11], v[21:22], v[0:1]
	v_fma_f64 v[0:1], -v[10:11], v[19:20], v[2:3]
	s_delay_alu instid0(VALU_DEP_4) | instskip(NEXT) | instid1(VALU_DEP_4)
	v_fma_f64 v[10:11], v[10:11], v[19:20], v[12:13]
	v_fma_f64 v[12:13], v[25:26], v[19:20], v[23:24]
	s_delay_alu instid0(VALU_DEP_4)
	v_fma_f64 v[2:3], v[25:26], v[19:20], v[21:22]
	ds_store_b128 v18, v[10:13] offset:4608
.LBB0_14:
	s_wait_alu 0xfffe
	s_and_not1_saveexec_b32 s0, s1
	s_cbranch_execz .LBB0_16
; %bb.15:
	ds_load_b128 v[10:13], v14 offset:2304
	s_wait_dscnt 0x0
	v_add_f64_e32 v[10:11], v[10:11], v[10:11]
	v_mul_f64_e32 v[12:13], -2.0, v[12:13]
	ds_store_b128 v14, v[10:13] offset:2304
.LBB0_16:
	s_wait_alu 0xfffe
	s_or_b32 exec_lo, exec_lo, s0
	v_mov_b32_e32 v5, 0
	s_add_nc_u64 s[0:1], s[4:5], 0x11a0
	s_mov_b32 s2, 0xe8584caa
	s_mov_b32 s3, 0x3febb67a
	s_delay_alu instid0(VALU_DEP_1) | instskip(SKIP_1) | instid1(VALU_DEP_1)
	v_lshlrev_b64_e32 v[10:11], 4, v[4:5]
	s_wait_alu 0xfffe
	v_add_co_u32 v12, s0, s0, v10
	s_wait_alu 0xf1ff
	s_delay_alu instid0(VALU_DEP_2)
	v_add_co_ci_u32_e64 v13, s0, s1, v11, s0
	s_mov_b32 s1, 0xbfebb67a
	s_mov_b32 s0, s2
	s_clause 0x1
	global_load_b128 v[19:22], v[12:13], off offset:384
	global_load_b128 v[23:26], v[12:13], off offset:768
	ds_store_b128 v15, v[0:3]
	ds_load_b128 v[0:3], v15 offset:384
	ds_load_b128 v[27:30], v18 offset:4224
	global_load_b128 v[31:34], v[12:13], off offset:1152
	s_wait_dscnt 0x0
	v_add_f64_e32 v[35:36], v[0:1], v[27:28]
	v_add_f64_e32 v[37:38], v[29:30], v[2:3]
	v_add_f64_e64 v[39:40], v[0:1], -v[27:28]
	v_add_f64_e64 v[0:1], v[2:3], -v[29:30]
	s_wait_loadcnt 0x2
	s_delay_alu instid0(VALU_DEP_2) | instskip(NEXT) | instid1(VALU_DEP_2)
	v_fma_f64 v[2:3], v[39:40], v[21:22], v[35:36]
	v_fma_f64 v[27:28], v[37:38], v[21:22], v[0:1]
	v_fma_f64 v[29:30], -v[39:40], v[21:22], v[35:36]
	v_fma_f64 v[21:22], v[37:38], v[21:22], -v[0:1]
	s_delay_alu instid0(VALU_DEP_4) | instskip(NEXT) | instid1(VALU_DEP_4)
	v_fma_f64 v[0:1], -v[37:38], v[19:20], v[2:3]
	v_fma_f64 v[2:3], v[39:40], v[19:20], v[27:28]
	s_delay_alu instid0(VALU_DEP_4) | instskip(NEXT) | instid1(VALU_DEP_4)
	v_fma_f64 v[27:28], v[37:38], v[19:20], v[29:30]
	v_fma_f64 v[29:30], v[39:40], v[19:20], v[21:22]
	ds_store_b128 v15, v[0:3] offset:384
	ds_store_b128 v18, v[27:30] offset:4224
	ds_load_b128 v[0:3], v15 offset:768
	ds_load_b128 v[19:22], v18 offset:3840
	global_load_b128 v[27:30], v[12:13], off offset:1536
	s_wait_dscnt 0x0
	v_add_f64_e32 v[35:36], v[0:1], v[19:20]
	v_add_f64_e32 v[37:38], v[21:22], v[2:3]
	v_add_f64_e64 v[39:40], v[0:1], -v[19:20]
	v_add_f64_e64 v[0:1], v[2:3], -v[21:22]
	s_wait_loadcnt 0x2
	s_delay_alu instid0(VALU_DEP_2) | instskip(NEXT) | instid1(VALU_DEP_2)
	v_fma_f64 v[2:3], v[39:40], v[25:26], v[35:36]
	v_fma_f64 v[19:20], v[37:38], v[25:26], v[0:1]
	v_fma_f64 v[21:22], -v[39:40], v[25:26], v[35:36]
	v_fma_f64 v[25:26], v[37:38], v[25:26], -v[0:1]
	s_delay_alu instid0(VALU_DEP_4) | instskip(NEXT) | instid1(VALU_DEP_4)
	v_fma_f64 v[0:1], -v[37:38], v[23:24], v[2:3]
	v_fma_f64 v[2:3], v[39:40], v[23:24], v[19:20]
	s_delay_alu instid0(VALU_DEP_4) | instskip(NEXT) | instid1(VALU_DEP_4)
	v_fma_f64 v[19:20], v[37:38], v[23:24], v[21:22]
	v_fma_f64 v[21:22], v[39:40], v[23:24], v[25:26]
	ds_store_b128 v15, v[0:3] offset:768
	ds_store_b128 v18, v[19:22] offset:3840
	ds_load_b128 v[0:3], v15 offset:1152
	ds_load_b128 v[19:22], v18 offset:3456
	global_load_b128 v[23:26], v[12:13], off offset:1920
	s_wait_dscnt 0x0
	v_add_f64_e32 v[12:13], v[0:1], v[19:20]
	v_add_f64_e32 v[35:36], v[21:22], v[2:3]
	v_add_f64_e64 v[37:38], v[0:1], -v[19:20]
	v_add_f64_e64 v[0:1], v[2:3], -v[21:22]
	s_wait_loadcnt 0x2
	s_delay_alu instid0(VALU_DEP_2) | instskip(NEXT) | instid1(VALU_DEP_2)
	v_fma_f64 v[2:3], v[37:38], v[33:34], v[12:13]
	v_fma_f64 v[19:20], v[35:36], v[33:34], v[0:1]
	v_fma_f64 v[12:13], -v[37:38], v[33:34], v[12:13]
	v_fma_f64 v[21:22], v[35:36], v[33:34], -v[0:1]
	s_delay_alu instid0(VALU_DEP_4) | instskip(NEXT) | instid1(VALU_DEP_4)
	v_fma_f64 v[0:1], -v[35:36], v[31:32], v[2:3]
	v_fma_f64 v[2:3], v[37:38], v[31:32], v[19:20]
	s_delay_alu instid0(VALU_DEP_4) | instskip(NEXT) | instid1(VALU_DEP_4)
	v_fma_f64 v[19:20], v[35:36], v[31:32], v[12:13]
	v_fma_f64 v[21:22], v[37:38], v[31:32], v[21:22]
	ds_store_b128 v15, v[0:3] offset:1152
	ds_store_b128 v18, v[19:22] offset:3456
	ds_load_b128 v[0:3], v15 offset:1536
	ds_load_b128 v[19:22], v18 offset:3072
	s_wait_dscnt 0x0
	v_add_f64_e32 v[12:13], v[0:1], v[19:20]
	v_add_f64_e32 v[31:32], v[21:22], v[2:3]
	v_add_f64_e64 v[33:34], v[0:1], -v[19:20]
	v_add_f64_e64 v[0:1], v[2:3], -v[21:22]
	s_wait_loadcnt 0x1
	s_delay_alu instid0(VALU_DEP_2) | instskip(NEXT) | instid1(VALU_DEP_2)
	v_fma_f64 v[2:3], v[33:34], v[29:30], v[12:13]
	v_fma_f64 v[19:20], v[31:32], v[29:30], v[0:1]
	v_fma_f64 v[12:13], -v[33:34], v[29:30], v[12:13]
	v_fma_f64 v[21:22], v[31:32], v[29:30], -v[0:1]
	s_delay_alu instid0(VALU_DEP_4) | instskip(NEXT) | instid1(VALU_DEP_4)
	v_fma_f64 v[0:1], -v[31:32], v[27:28], v[2:3]
	v_fma_f64 v[2:3], v[33:34], v[27:28], v[19:20]
	s_delay_alu instid0(VALU_DEP_4) | instskip(NEXT) | instid1(VALU_DEP_4)
	v_fma_f64 v[19:20], v[31:32], v[27:28], v[12:13]
	v_fma_f64 v[21:22], v[33:34], v[27:28], v[21:22]
	ds_store_b128 v15, v[0:3] offset:1536
	ds_store_b128 v18, v[19:22] offset:3072
	ds_load_b128 v[0:3], v15 offset:1920
	ds_load_b128 v[19:22], v18 offset:2688
	s_wait_dscnt 0x0
	v_add_f64_e32 v[12:13], v[0:1], v[19:20]
	v_add_f64_e32 v[27:28], v[21:22], v[2:3]
	v_add_f64_e64 v[0:1], v[0:1], -v[19:20]
	v_add_f64_e64 v[2:3], v[2:3], -v[21:22]
	s_wait_loadcnt 0x0
	s_delay_alu instid0(VALU_DEP_2) | instskip(NEXT) | instid1(VALU_DEP_2)
	v_fma_f64 v[19:20], v[0:1], v[25:26], v[12:13]
	v_fma_f64 v[21:22], v[27:28], v[25:26], v[2:3]
	v_fma_f64 v[12:13], -v[0:1], v[25:26], v[12:13]
	v_fma_f64 v[2:3], v[27:28], v[25:26], -v[2:3]
	s_delay_alu instid0(VALU_DEP_4) | instskip(NEXT) | instid1(VALU_DEP_4)
	v_fma_f64 v[19:20], -v[27:28], v[23:24], v[19:20]
	v_fma_f64 v[21:22], v[0:1], v[23:24], v[21:22]
	s_delay_alu instid0(VALU_DEP_4) | instskip(NEXT) | instid1(VALU_DEP_4)
	v_fma_f64 v[25:26], v[27:28], v[23:24], v[12:13]
	v_fma_f64 v[27:28], v[0:1], v[23:24], v[2:3]
	v_add3_u32 v0, 0, v17, v16
	v_and_b32_e32 v3, 0xff, v4
	ds_store_b128 v15, v[19:22] offset:1920
	ds_store_b128 v18, v[25:28] offset:2688
	global_wb scope:SCOPE_SE
	s_wait_dscnt 0x0
	s_barrier_signal -1
	s_barrier_wait -1
	global_inv scope:SCOPE_SE
	global_wb scope:SCOPE_SE
	s_barrier_signal -1
	s_barrier_wait -1
	global_inv scope:SCOPE_SE
	ds_load_b128 v[17:20], v0 offset:3840
	ds_load_b128 v[21:24], v0 offset:2304
	;; [unrolled: 1-line block ×6, first 2 shown]
	v_mul_lo_u16 v3, 0xab, v3
	s_delay_alu instid0(VALU_DEP_1)
	v_lshrrev_b16 v93, 10, v3
	s_wait_dscnt 0x4
	v_add_f64_e32 v[1:2], v[23:24], v[19:20]
	v_add_f64_e32 v[12:13], v[21:22], v[17:18]
	s_wait_dscnt 0x2
	v_add_f64_e32 v[41:42], v[27:28], v[31:32]
	v_add_f64_e32 v[43:44], v[25:26], v[29:30]
	v_add_f64_e64 v[57:58], v[23:24], -v[19:20]
	v_add_f64_e64 v[59:60], v[21:22], -v[17:18]
	;; [unrolled: 1-line block ×4, first 2 shown]
	s_wait_dscnt 0x1
	v_add_f64_e32 v[21:22], v[33:34], v[21:22]
	v_add_f64_e32 v[23:24], v[35:36], v[23:24]
	s_wait_dscnt 0x0
	v_add_f64_e32 v[25:26], v[37:38], v[25:26]
	v_add_f64_e32 v[27:28], v[39:40], v[27:28]
	v_fma_f64 v[1:2], v[1:2], -0.5, v[35:36]
	v_fma_f64 v[12:13], v[12:13], -0.5, v[33:34]
	v_fma_f64 v[69:70], v[41:42], -0.5, v[39:40]
	v_fma_f64 v[71:72], v[43:44], -0.5, v[37:38]
	ds_load_b128 v[41:44], v0 offset:3072
	ds_load_b128 v[45:48], v0 offset:1536
	;; [unrolled: 1-line block ×5, first 2 shown]
	v_add_f64_e32 v[21:22], v[21:22], v[17:18]
	v_add_f64_e32 v[23:24], v[23:24], v[19:20]
	;; [unrolled: 1-line block ×4, first 2 shown]
	s_wait_dscnt 0x3
	v_add_f64_e32 v[73:74], v[45:46], v[41:42]
	v_add_f64_e32 v[75:76], v[47:48], v[43:44]
	s_wait_dscnt 0x1
	v_add_f64_e32 v[81:82], v[49:50], v[53:54]
	v_add_f64_e32 v[83:84], v[51:52], v[55:56]
	v_add_f64_e64 v[39:40], v[45:46], -v[41:42]
	s_wait_dscnt 0x0
	v_add_f64_e32 v[33:34], v[61:62], v[49:50]
	v_add_f64_e32 v[35:36], v[63:64], v[51:52]
	v_add_f64_e64 v[51:52], v[51:52], -v[55:56]
	v_add_f64_e64 v[49:50], v[49:50], -v[53:54]
	s_wait_alu 0xfffe
	v_fma_f64 v[77:78], v[59:60], s[0:1], v[1:2]
	v_fma_f64 v[79:80], v[57:58], s[0:1], v[12:13]
	;; [unrolled: 1-line block ×8, first 2 shown]
	ds_load_b128 v[57:60], v15
	v_add_f64_e64 v[71:72], v[47:48], -v[43:44]
	global_wb scope:SCOPE_SE
	s_wait_dscnt 0x0
	s_barrier_signal -1
	s_barrier_wait -1
	global_inv scope:SCOPE_SE
	v_fma_f64 v[61:62], v[81:82], -0.5, v[61:62]
	v_fma_f64 v[63:64], v[83:84], -0.5, v[63:64]
	v_add_f64_e32 v[33:34], v[33:34], v[53:54]
	v_add_f64_e32 v[69:70], v[57:58], v[45:46]
	;; [unrolled: 1-line block ×3, first 2 shown]
	v_fma_f64 v[37:38], v[73:74], -0.5, v[57:58]
	v_fma_f64 v[45:46], v[75:76], -0.5, v[59:60]
	v_add_f64_e32 v[35:36], v[35:36], v[55:56]
	v_mul_f64_e32 v[57:58], s[2:3], v[77:78]
	v_mul_f64_e32 v[59:60], -0.5, v[79:80]
	v_mul_f64_e32 v[73:74], s[0:1], v[12:13]
	v_mul_f64_e32 v[75:76], -0.5, v[1:2]
	;; [unrolled: 2-line block ×4, first 2 shown]
	v_add_f64_e32 v[25:26], v[33:34], v[29:30]
	v_add_f64_e32 v[41:42], v[69:70], v[41:42]
	;; [unrolled: 1-line block ×3, first 2 shown]
	v_fma_f64 v[47:48], v[71:72], s[2:3], v[37:38]
	v_fma_f64 v[55:56], v[39:40], s[0:1], v[45:46]
	;; [unrolled: 1-line block ×6, first 2 shown]
	v_add_f64_e32 v[27:28], v[35:36], v[31:32]
	v_add_f64_e64 v[29:30], v[33:34], -v[29:30]
	v_fma_f64 v[12:13], v[12:13], 0.5, v[57:58]
	v_fma_f64 v[1:2], v[1:2], s[2:3], v[59:60]
	v_fma_f64 v[57:58], v[77:78], 0.5, v[73:74]
	v_fma_f64 v[59:60], v[79:80], s[0:1], v[75:76]
	v_fma_f64 v[73:74], v[49:50], s[0:1], v[63:64]
	v_fma_f64 v[65:66], v[65:66], 0.5, v[81:82]
	v_fma_f64 v[75:76], v[85:86], 0.5, v[89:90]
	v_fma_f64 v[63:64], v[49:50], s[2:3], v[63:64]
	v_fma_f64 v[67:68], v[67:68], s[2:3], v[83:84]
	;; [unrolled: 1-line block ×3, first 2 shown]
	v_add_f64_e64 v[31:32], v[35:36], -v[31:32]
	v_mad_u32_u24 v85, 0x50, v4, v0
	v_add_f64_e32 v[17:18], v[41:42], v[21:22]
	v_add_f64_e32 v[19:20], v[43:44], v[23:24]
	v_add_f64_e64 v[21:22], v[41:42], -v[21:22]
	v_add_f64_e64 v[23:24], v[43:44], -v[23:24]
	v_add_f64_e32 v[33:34], v[47:48], v[12:13]
	v_add_f64_e32 v[37:38], v[53:54], v[1:2]
	v_add_f64_e32 v[35:36], v[55:56], v[57:58]
	v_add_f64_e32 v[39:40], v[69:70], v[59:60]
	v_add_f64_e64 v[41:42], v[47:48], -v[12:13]
	v_add_f64_e64 v[43:44], v[55:56], -v[57:58]
	;; [unrolled: 1-line block ×4, first 2 shown]
	v_add_f64_e32 v[49:50], v[71:72], v[65:66]
	v_add_f64_e32 v[51:52], v[73:74], v[75:76]
	;; [unrolled: 1-line block ×4, first 2 shown]
	v_add_f64_e64 v[57:58], v[71:72], -v[65:66]
	v_add_f64_e64 v[59:60], v[73:74], -v[75:76]
	;; [unrolled: 1-line block ×4, first 2 shown]
	v_add_nc_u32_e32 v2, 24, v4
	v_mul_lo_u16 v1, v93, 6
	ds_store_b128 v85, v[17:20]
	ds_store_b128 v85, v[33:36] offset:16
	ds_store_b128 v85, v[37:40] offset:32
	;; [unrolled: 1-line block ×11, first 2 shown]
	v_and_b32_e32 v3, 0xff, v2
	v_sub_nc_u16 v1, v4, v1
	global_wb scope:SCOPE_SE
	s_wait_dscnt 0x0
	s_barrier_signal -1
	s_barrier_wait -1
	v_mul_lo_u16 v12, 0xab, v3
	v_and_b32_e32 v3, 0xff, v1
	global_inv scope:SCOPE_SE
	v_lshrrev_b16 v13, 10, v12
	v_mul_u32_u24_e32 v1, 5, v3
	v_lshlrev_b32_e32 v3, 4, v3
	s_delay_alu instid0(VALU_DEP_3) | instskip(NEXT) | instid1(VALU_DEP_3)
	v_mul_lo_u16 v12, v13, 6
	v_lshlrev_b32_e32 v1, 4, v1
	v_and_b32_e32 v13, 0xffff, v13
	s_delay_alu instid0(VALU_DEP_3)
	v_sub_nc_u16 v12, v2, v12
	s_clause 0x1
	global_load_b128 v[17:20], v1, s[4:5] offset:32
	global_load_b128 v[21:24], v1, s[4:5] offset:64
	v_mad_u32_u24 v13, 0x240, v13, 0
	v_and_b32_e32 v12, 0xff, v12
	s_delay_alu instid0(VALU_DEP_1) | instskip(SKIP_1) | instid1(VALU_DEP_2)
	v_mul_u32_u24_e32 v25, 5, v12
	v_lshlrev_b32_e32 v12, 4, v12
	v_lshlrev_b32_e32 v53, 4, v25
	s_clause 0x7
	global_load_b128 v[25:28], v53, s[4:5] offset:32
	global_load_b128 v[29:32], v53, s[4:5] offset:64
	global_load_b128 v[33:36], v1, s[4:5]
	global_load_b128 v[37:40], v1, s[4:5] offset:16
	global_load_b128 v[41:44], v53, s[4:5]
	global_load_b128 v[45:48], v1, s[4:5] offset:48
	global_load_b128 v[49:52], v53, s[4:5] offset:16
	global_load_b128 v[53:56], v53, s[4:5] offset:48
	ds_load_b128 v[57:60], v0 offset:2304
	ds_load_b128 v[61:64], v0 offset:3840
	ds_load_b128 v[65:68], v0 offset:2688
	ds_load_b128 v[69:72], v0 offset:3456
	ds_load_b128 v[73:76], v0 offset:4224
	v_mad_i32_i24 v1, 0xffffffb0, v4, v85
	v_add3_u32 v12, v13, v12, v16
	s_wait_loadcnt_dscnt 0x904
	v_mul_f64_e32 v[77:78], v[59:60], v[19:20]
	v_mul_f64_e32 v[19:20], v[57:58], v[19:20]
	s_wait_loadcnt_dscnt 0x803
	v_mul_f64_e32 v[79:80], v[63:64], v[23:24]
	v_mul_f64_e32 v[23:24], v[61:62], v[23:24]
	;; [unrolled: 3-line block ×4, first 2 shown]
	v_fma_f64 v[77:78], v[57:58], v[17:18], -v[77:78]
	v_fma_f64 v[85:86], v[59:60], v[17:18], v[19:20]
	ds_load_b128 v[17:20], v1 offset:768
	ds_load_b128 v[57:60], v1 offset:1536
	v_fma_f64 v[61:62], v[61:62], v[21:22], -v[79:80]
	v_fma_f64 v[63:64], v[63:64], v[21:22], v[23:24]
	ds_load_b128 v[21:24], v1 offset:1152
	v_fma_f64 v[65:66], v[65:66], v[25:26], -v[81:82]
	v_fma_f64 v[67:68], v[67:68], v[25:26], v[27:28]
	v_fma_f64 v[73:74], v[73:74], v[29:30], -v[83:84]
	v_fma_f64 v[75:76], v[75:76], v[29:30], v[31:32]
	ds_load_b128 v[29:32], v0 offset:3072
	ds_load_b128 v[25:28], v1 offset:1920
	s_wait_loadcnt_dscnt 0x504
	v_mul_f64_e32 v[79:80], v[19:20], v[35:36]
	v_mul_f64_e32 v[35:36], v[17:18], v[35:36]
	s_wait_loadcnt_dscnt 0x403
	v_mul_f64_e32 v[81:82], v[59:60], v[39:40]
	v_mul_f64_e32 v[39:40], v[57:58], v[39:40]
	s_wait_loadcnt_dscnt 0x302
	v_mul_f64_e32 v[83:84], v[23:24], v[43:44]
	v_mul_f64_e32 v[43:44], v[21:22], v[43:44]
	v_fma_f64 v[79:80], v[17:18], v[33:34], -v[79:80]
	v_fma_f64 v[33:34], v[19:20], v[33:34], v[35:36]
	s_wait_loadcnt_dscnt 0x201
	v_mul_f64_e32 v[17:18], v[31:32], v[47:48]
	v_mul_f64_e32 v[19:20], v[29:30], v[47:48]
	s_wait_loadcnt_dscnt 0x100
	v_mul_f64_e32 v[35:36], v[27:28], v[51:52]
	v_mul_f64_e32 v[47:48], v[25:26], v[51:52]
	v_fma_f64 v[51:52], v[57:58], v[37:38], -v[81:82]
	v_fma_f64 v[37:38], v[59:60], v[37:38], v[39:40]
	v_add_f64_e32 v[39:40], v[85:86], v[63:64]
	v_add_f64_e32 v[57:58], v[77:78], v[61:62]
	s_wait_loadcnt 0x0
	v_mul_f64_e32 v[59:60], v[71:72], v[55:56]
	v_mul_f64_e32 v[55:56], v[69:70], v[55:56]
	v_fma_f64 v[81:82], v[21:22], v[41:42], -v[83:84]
	v_fma_f64 v[41:42], v[23:24], v[41:42], v[43:44]
	v_add_f64_e32 v[21:22], v[65:66], v[73:74]
	v_add_f64_e32 v[23:24], v[67:68], v[75:76]
	v_add_f64_e64 v[43:44], v[77:78], -v[61:62]
	v_add_f64_e32 v[77:78], v[79:80], v[77:78]
	v_fma_f64 v[29:30], v[29:30], v[45:46], -v[17:18]
	v_fma_f64 v[31:32], v[31:32], v[45:46], v[19:20]
	v_fma_f64 v[25:26], v[25:26], v[49:50], -v[35:36]
	v_add_f64_e64 v[35:36], v[85:86], -v[63:64]
	v_fma_f64 v[27:28], v[27:28], v[49:50], v[47:48]
	ds_load_b128 v[17:20], v15
	v_fma_f64 v[39:40], v[39:40], -0.5, v[33:34]
	v_fma_f64 v[45:46], v[57:58], -0.5, v[79:80]
	v_fma_f64 v[47:48], v[69:70], v[53:54], -v[59:60]
	v_fma_f64 v[49:50], v[71:72], v[53:54], v[55:56]
	v_add_f64_e64 v[53:54], v[67:68], -v[75:76]
	v_add_f64_e64 v[55:56], v[65:66], -v[73:74]
	v_fma_f64 v[21:22], v[21:22], -0.5, v[81:82]
	v_fma_f64 v[23:24], v[23:24], -0.5, v[41:42]
	v_add_f64_e32 v[33:34], v[33:34], v[85:86]
	v_add_f64_e32 v[65:66], v[81:82], v[65:66]
	;; [unrolled: 1-line block ×6, first 2 shown]
	v_fma_f64 v[83:84], v[43:44], s[0:1], v[39:40]
	v_fma_f64 v[87:88], v[35:36], s[0:1], v[45:46]
	;; [unrolled: 1-line block ×4, first 2 shown]
	v_add_f64_e32 v[43:44], v[25:26], v[47:48]
	v_add_f64_e32 v[45:46], v[27:28], v[49:50]
	v_fma_f64 v[89:90], v[53:54], s[2:3], v[21:22]
	v_fma_f64 v[53:54], v[53:54], s[0:1], v[21:22]
	;; [unrolled: 1-line block ×4, first 2 shown]
	ds_load_b128 v[21:24], v1 offset:384
	s_wait_dscnt 0x1
	v_add_f64_e32 v[59:60], v[17:18], v[51:52]
	v_add_f64_e32 v[71:72], v[19:20], v[37:38]
	v_add_f64_e64 v[37:38], v[37:38], -v[31:32]
	v_add_f64_e64 v[51:52], v[51:52], -v[29:30]
	v_add_f64_e32 v[33:34], v[33:34], v[63:64]
	v_add_f64_e32 v[63:64], v[65:66], v[73:74]
	;; [unrolled: 1-line block ×3, first 2 shown]
	global_wb scope:SCOPE_SE
	s_wait_dscnt 0x0
	s_barrier_signal -1
	s_barrier_wait -1
	global_inv scope:SCOPE_SE
	v_add_f64_e32 v[85:86], v[23:24], v[27:28]
	v_add_f64_e32 v[79:80], v[21:22], v[25:26]
	v_fma_f64 v[17:18], v[57:58], -0.5, v[17:18]
	v_fma_f64 v[19:20], v[69:70], -0.5, v[19:20]
	v_add_f64_e64 v[27:28], v[27:28], -v[49:50]
	v_add_f64_e64 v[25:26], v[25:26], -v[47:48]
	v_mul_f64_e32 v[57:58], s[2:3], v[83:84]
	v_mul_f64_e32 v[67:68], -0.5, v[87:88]
	v_mul_f64_e32 v[69:70], s[0:1], v[35:36]
	v_mul_f64_e32 v[81:82], -0.5, v[39:40]
	v_fma_f64 v[21:22], v[43:44], -0.5, v[21:22]
	v_fma_f64 v[23:24], v[45:46], -0.5, v[23:24]
	v_mul_f64_e32 v[45:46], -0.5, v[53:54]
	v_mul_f64_e32 v[43:44], s[2:3], v[91:92]
	v_add_f64_e32 v[29:30], v[59:60], v[29:30]
	v_mul_f64_e32 v[59:60], s[0:1], v[89:90]
	v_add_f64_e32 v[31:32], v[71:72], v[31:32]
	v_mul_f64_e32 v[71:72], -0.5, v[55:56]
	v_add_f64_e32 v[49:50], v[85:86], v[49:50]
	v_add_f64_e32 v[47:48], v[79:80], v[47:48]
	v_fma_f64 v[65:66], v[37:38], s[2:3], v[17:18]
	v_fma_f64 v[75:76], v[51:52], s[0:1], v[19:20]
	;; [unrolled: 1-line block ×4, first 2 shown]
	v_fma_f64 v[57:58], v[35:36], 0.5, v[57:58]
	v_fma_f64 v[67:68], v[39:40], s[2:3], v[67:68]
	v_fma_f64 v[69:70], v[83:84], 0.5, v[69:70]
	v_fma_f64 v[77:78], v[87:88], s[0:1], v[81:82]
	v_fma_f64 v[79:80], v[27:28], s[2:3], v[21:22]
	;; [unrolled: 1-line block ×5, first 2 shown]
	v_fma_f64 v[87:88], v[89:90], 0.5, v[43:44]
	v_fma_f64 v[89:90], v[55:56], s[2:3], v[45:46]
	v_add_f64_e32 v[17:18], v[29:30], v[61:62]
	v_fma_f64 v[59:60], v[91:92], 0.5, v[59:60]
	v_add_f64_e32 v[19:20], v[31:32], v[33:34]
	v_fma_f64 v[71:72], v[53:54], s[0:1], v[71:72]
	v_add_f64_e64 v[23:24], v[31:32], -v[33:34]
	v_add_f64_e64 v[21:22], v[29:30], -v[61:62]
	v_cmp_gt_u32_e64 s0, 12, v4
	v_add_f64_e32 v[27:28], v[49:50], v[41:42]
	v_add_f64_e64 v[31:32], v[49:50], -v[41:42]
	v_add_f64_e32 v[25:26], v[47:48], v[63:64]
	v_add_f64_e64 v[29:30], v[47:48], -v[63:64]
	v_add_f64_e32 v[33:34], v[65:66], v[57:58]
	v_add_f64_e32 v[37:38], v[73:74], v[67:68]
	;; [unrolled: 1-line block ×4, first 2 shown]
	v_add_f64_e64 v[41:42], v[65:66], -v[57:58]
	v_add_f64_e64 v[43:44], v[75:76], -v[69:70]
	;; [unrolled: 1-line block ×4, first 2 shown]
	v_add_f64_e32 v[49:50], v[79:80], v[87:88]
	v_add_f64_e32 v[53:54], v[81:82], v[89:90]
	v_add_f64_e64 v[57:58], v[79:80], -v[87:88]
	v_add_f64_e64 v[61:62], v[81:82], -v[89:90]
	v_add_f64_e32 v[51:52], v[83:84], v[59:60]
	v_add_f64_e64 v[59:60], v[83:84], -v[59:60]
	v_add_f64_e32 v[55:56], v[85:86], v[71:72]
	v_add_f64_e64 v[63:64], v[85:86], -v[71:72]
	v_and_b32_e32 v65, 0xffff, v93
	v_mul_u32_u24_e32 v66, 3, v4
	s_delay_alu instid0(VALU_DEP_2) | instskip(NEXT) | instid1(VALU_DEP_2)
	v_mad_u32_u24 v65, 0x240, v65, 0
	v_lshlrev_b32_e32 v66, 4, v66
	s_delay_alu instid0(VALU_DEP_2)
	v_add3_u32 v3, v65, v3, v16
	ds_store_b128 v3, v[17:20]
	ds_store_b128 v3, v[33:36] offset:96
	ds_store_b128 v3, v[37:40] offset:192
	;; [unrolled: 1-line block ×5, first 2 shown]
	ds_store_b128 v12, v[25:28]
	ds_store_b128 v12, v[49:52] offset:96
	ds_store_b128 v12, v[53:56] offset:192
	;; [unrolled: 1-line block ×5, first 2 shown]
	global_wb scope:SCOPE_SE
	s_wait_dscnt 0x0
	s_barrier_signal -1
	s_barrier_wait -1
	global_inv scope:SCOPE_SE
	s_clause 0x1
	global_load_b128 v[17:20], v66, s[4:5] offset:480
	global_load_b128 v[21:24], v66, s[4:5] offset:496
	v_add_nc_u32_e32 v3, -12, v4
	global_load_b128 v[25:28], v66, s[4:5] offset:512
	s_wait_alu 0xf1ff
	v_cndmask_b32_e64 v87, v3, v2, s0
	v_mov_b32_e32 v3, v5
	s_delay_alu instid0(VALU_DEP_2) | instskip(NEXT) | instid1(VALU_DEP_1)
	v_mul_i32_i24_e32 v2, 3, v87
	v_lshlrev_b64_e32 v[2:3], 4, v[2:3]
	s_delay_alu instid0(VALU_DEP_1) | instskip(SKIP_1) | instid1(VALU_DEP_2)
	v_add_co_u32 v2, s0, s4, v2
	s_wait_alu 0xf1ff
	v_add_co_ci_u32_e64 v3, s0, s5, v3, s0
	s_clause 0x5
	global_load_b128 v[29:32], v[2:3], off offset:480
	global_load_b128 v[33:36], v[2:3], off offset:496
	;; [unrolled: 1-line block ×3, first 2 shown]
	global_load_b128 v[41:44], v66, s[4:5] offset:1056
	global_load_b128 v[45:48], v66, s[4:5] offset:1072
	;; [unrolled: 1-line block ×3, first 2 shown]
	ds_load_b128 v[53:56], v1 offset:1152
	ds_load_b128 v[57:60], v0 offset:2304
	ds_load_b128 v[61:64], v1 offset:768
	ds_load_b128 v[65:68], v0 offset:3456
	ds_load_b128 v[69:72], v1 offset:1536
	ds_load_b128 v[73:76], v0 offset:3840
	ds_load_b128 v[77:80], v1 offset:1920
	v_cmp_lt_u32_e64 s0, 11, v4
	s_wait_loadcnt_dscnt 0x806
	v_mul_f64_e32 v[2:3], v[55:56], v[19:20]
	v_mul_f64_e32 v[12:13], v[53:54], v[19:20]
	s_wait_loadcnt_dscnt 0x705
	v_mul_f64_e32 v[81:82], v[59:60], v[23:24]
	v_mul_f64_e32 v[23:24], v[57:58], v[23:24]
	;; [unrolled: 3-line block ×4, first 2 shown]
	v_fma_f64 v[2:3], v[53:54], v[17:18], -v[2:3]
	v_fma_f64 v[12:13], v[55:56], v[17:18], v[12:13]
	ds_load_b128 v[17:20], v0 offset:2688
	ds_load_b128 v[53:56], v0 offset:3072
	v_fma_f64 v[57:58], v[57:58], v[21:22], -v[81:82]
	v_fma_f64 v[59:60], v[59:60], v[21:22], v[23:24]
	ds_load_b128 v[21:24], v0 offset:4224
	v_fma_f64 v[65:66], v[65:66], v[25:26], -v[83:84]
	v_fma_f64 v[25:26], v[67:68], v[25:26], v[27:28]
	s_wait_loadcnt_dscnt 0x304
	v_mul_f64_e32 v[27:28], v[75:76], v[39:40]
	v_mul_f64_e32 v[39:40], v[73:74], v[39:40]
	s_wait_loadcnt_dscnt 0x203
	v_mul_f64_e32 v[67:68], v[79:80], v[43:44]
	v_mul_f64_e32 v[43:44], v[77:78], v[43:44]
	s_wait_dscnt 0x2
	v_mul_f64_e32 v[81:82], v[19:20], v[35:36]
	v_mul_f64_e32 v[35:36], v[17:18], v[35:36]
	v_fma_f64 v[69:70], v[69:70], v[29:30], -v[85:86]
	v_fma_f64 v[29:30], v[71:72], v[29:30], v[31:32]
	s_wait_loadcnt_dscnt 0x101
	v_mul_f64_e32 v[31:32], v[55:56], v[47:48]
	v_mul_f64_e32 v[47:48], v[53:54], v[47:48]
	s_wait_loadcnt_dscnt 0x0
	v_mul_f64_e32 v[71:72], v[23:24], v[51:52]
	v_mul_f64_e32 v[51:52], v[21:22], v[51:52]
	v_add_f64_e64 v[25:26], v[12:13], -v[25:26]
	v_fma_f64 v[27:28], v[73:74], v[37:38], -v[27:28]
	v_fma_f64 v[81:82], v[17:18], v[33:34], -v[81:82]
	v_fma_f64 v[33:34], v[19:20], v[33:34], v[35:36]
	v_fma_f64 v[35:36], v[75:76], v[37:38], v[39:40]
	v_fma_f64 v[37:38], v[77:78], v[41:42], -v[67:68]
	v_fma_f64 v[39:40], v[79:80], v[41:42], v[43:44]
	v_fma_f64 v[31:32], v[53:54], v[45:46], -v[31:32]
	;; [unrolled: 2-line block ×3, first 2 shown]
	v_fma_f64 v[45:46], v[23:24], v[49:50], v[51:52]
	ds_load_b128 v[17:20], v15
	ds_load_b128 v[21:24], v1 offset:384
	v_add_f64_e64 v[51:52], v[2:3], -v[65:66]
	global_wb scope:SCOPE_SE
	s_wait_dscnt 0x0
	s_barrier_signal -1
	s_barrier_wait -1
	global_inv scope:SCOPE_SE
	v_fma_f64 v[12:13], v[12:13], 2.0, -v[25:26]
	v_add_f64_e64 v[47:48], v[17:18], -v[57:58]
	v_add_f64_e64 v[49:50], v[19:20], -v[59:60]
	;; [unrolled: 1-line block ×10, first 2 shown]
	v_fma_f64 v[2:3], v[2:3], 2.0, -v[51:52]
	v_fma_f64 v[55:56], v[17:18], 2.0, -v[47:48]
	;; [unrolled: 1-line block ×3, first 2 shown]
	v_add_f64_e64 v[17:18], v[47:48], -v[25:26]
	v_add_f64_e32 v[19:20], v[49:50], v[51:52]
	v_fma_f64 v[71:72], v[21:22], 2.0, -v[53:54]
	v_fma_f64 v[73:74], v[23:24], 2.0, -v[57:58]
	;; [unrolled: 1-line block ×4, first 2 shown]
	v_add_f64_e64 v[21:22], v[53:54], -v[27:28]
	v_fma_f64 v[61:62], v[61:62], 2.0, -v[59:60]
	v_fma_f64 v[63:64], v[63:64], 2.0, -v[65:66]
	;; [unrolled: 1-line block ×4, first 2 shown]
	v_add_f64_e32 v[35:36], v[65:66], v[35:36]
	v_add_f64_e64 v[25:26], v[55:56], -v[2:3]
	v_add_f64_e64 v[27:28], v[67:68], -v[12:13]
	s_wait_alu 0xf1ff
	v_cndmask_b32_e64 v12, 0, 0x900, s0
	v_fma_f64 v[43:44], v[49:50], 2.0, -v[19:20]
	v_add_co_u32 v2, s0, s4, v8
	s_wait_alu 0xf1ff
	v_add_co_ci_u32_e64 v3, s0, s5, v9, s0
	v_add_nc_u32_e32 v8, 0, v12
	v_lshlrev_b32_e32 v9, 4, v87
	v_add_co_u32 v12, s0, s4, v10
	v_add_f64_e64 v[29:30], v[71:72], -v[23:24]
	v_add_f64_e64 v[31:32], v[73:74], -v[31:32]
	v_add_f64_e32 v[23:24], v[57:58], v[33:34]
	v_add_f64_e64 v[33:34], v[59:60], -v[41:42]
	v_fma_f64 v[41:42], v[47:48], 2.0, -v[17:18]
	v_add_f64_e64 v[37:38], v[61:62], -v[37:38]
	v_add_f64_e64 v[39:40], v[63:64], -v[39:40]
	v_fma_f64 v[45:46], v[53:54], 2.0, -v[21:22]
	s_wait_alu 0xf1ff
	v_add_co_ci_u32_e64 v13, s0, s5, v11, s0
	v_add3_u32 v8, v8, v9, v16
	v_fma_f64 v[49:50], v[55:56], 2.0, -v[25:26]
	v_fma_f64 v[51:52], v[67:68], 2.0, -v[27:28]
	;; [unrolled: 1-line block ×9, first 2 shown]
	ds_store_b128 v0, v[25:28] offset:1152
	ds_store_b128 v0, v[17:20] offset:1728
	ds_store_b128 v0, v[49:52]
	ds_store_b128 v0, v[41:44] offset:576
	ds_store_b128 v8, v[53:56]
	ds_store_b128 v8, v[45:48] offset:576
	ds_store_b128 v8, v[29:32] offset:1152
	;; [unrolled: 1-line block ×7, first 2 shown]
	global_wb scope:SCOPE_SE
	s_wait_dscnt 0x0
	s_barrier_signal -1
	s_barrier_wait -1
	global_inv scope:SCOPE_SE
	s_clause 0x5
	global_load_b128 v[8:11], v[2:3], off offset:2208
	global_load_b128 v[16:19], v[12:13], off offset:2592
	;; [unrolled: 1-line block ×6, first 2 shown]
	ds_load_b128 v[36:39], v0 offset:2304
	ds_load_b128 v[40:43], v0 offset:2688
	;; [unrolled: 1-line block ×6, first 2 shown]
	s_wait_loadcnt_dscnt 0x505
	v_mul_f64_e32 v[2:3], v[38:39], v[10:11]
	v_mul_f64_e32 v[10:11], v[36:37], v[10:11]
	s_wait_loadcnt_dscnt 0x404
	v_mul_f64_e32 v[12:13], v[42:43], v[18:19]
	v_mul_f64_e32 v[18:19], v[40:41], v[18:19]
	;; [unrolled: 3-line block ×6, first 2 shown]
	v_fma_f64 v[2:3], v[36:37], v[8:9], -v[2:3]
	v_fma_f64 v[37:38], v[38:39], v[8:9], v[10:11]
	v_fma_f64 v[12:13], v[40:41], v[16:17], -v[12:13]
	v_fma_f64 v[39:40], v[42:43], v[16:17], v[18:19]
	;; [unrolled: 2-line block ×6, first 2 shown]
	ds_load_b128 v[8:11], v15
	ds_load_b128 v[15:18], v1 offset:384
	ds_load_b128 v[19:22], v1 offset:768
	;; [unrolled: 1-line block ×5, first 2 shown]
	global_wb scope:SCOPE_SE
	s_wait_dscnt 0x0
	s_barrier_signal -1
	s_barrier_wait -1
	global_inv scope:SCOPE_SE
	v_add_f64_e64 v[35:36], v[8:9], -v[2:3]
	v_add_f64_e64 v[37:38], v[10:11], -v[37:38]
	v_add_f64_e64 v[2:3], v[15:16], -v[12:13]
	v_add_f64_e64 v[12:13], v[17:18], -v[39:40]
	v_add_f64_e64 v[39:40], v[19:20], -v[41:42]
	v_add_f64_e64 v[41:42], v[21:22], -v[43:44]
	v_add_f64_e64 v[43:44], v[23:24], -v[45:46]
	v_add_f64_e64 v[45:46], v[25:26], -v[47:48]
	v_add_f64_e64 v[47:48], v[27:28], -v[49:50]
	v_add_f64_e64 v[49:50], v[29:30], -v[51:52]
	v_add_f64_e64 v[51:52], v[31:32], -v[53:54]
	v_add_f64_e64 v[53:54], v[33:34], -v[55:56]
	v_add_nc_u32_e32 v55, 0x800, v1
	v_add_nc_u32_e32 v56, 0x1000, v1
	v_fma_f64 v[8:9], v[8:9], 2.0, -v[35:36]
	v_fma_f64 v[10:11], v[10:11], 2.0, -v[37:38]
	;; [unrolled: 1-line block ×12, first 2 shown]
	ds_store_b128 v0, v[8:11]
	ds_store_b128 v0, v[35:38] offset:2304
	ds_store_b128 v1, v[15:18] offset:384
	ds_store_2addr_b64 v55, v[2:3], v[12:13] offset0:80 offset1:81
	ds_store_b128 v1, v[19:22] offset:768
	ds_store_2addr_b64 v55, v[39:40], v[41:42] offset0:128 offset1:129
	;; [unrolled: 2-line block ×5, first 2 shown]
	global_wb scope:SCOPE_SE
	s_wait_dscnt 0x0
	s_barrier_signal -1
	s_barrier_wait -1
	global_inv scope:SCOPE_SE
	s_and_saveexec_b32 s0, vcc_lo
	s_cbranch_execz .LBB0_18
; %bb.17:
	v_lshl_add_u32 v36, v4, 4, v14
	v_dual_mov_b32 v15, v5 :: v_dual_add_nc_u32 v14, 24, v4
	v_lshlrev_b64_e32 v[12:13], 4, v[4:5]
	v_add_co_u32 v37, vcc_lo, s8, v6
	ds_load_b128 v[0:3], v36
	ds_load_b128 v[8:11], v36 offset:384
	s_wait_alu 0xfffd
	v_add_co_ci_u32_e32 v38, vcc_lo, s9, v7, vcc_lo
	v_dual_mov_b32 v7, v5 :: v_dual_add_nc_u32 v6, 48, v4
	v_lshlrev_b64_e32 v[14:15], 4, v[14:15]
	v_add_co_u32 v12, vcc_lo, v37, v12
	s_wait_alu 0xfffd
	v_add_co_ci_u32_e32 v13, vcc_lo, v38, v13, vcc_lo
	v_lshlrev_b64_e32 v[6:7], 4, v[6:7]
	s_delay_alu instid0(VALU_DEP_4) | instskip(SKIP_3) | instid1(VALU_DEP_4)
	v_add_co_u32 v14, vcc_lo, v37, v14
	s_wait_alu 0xfffd
	v_add_co_ci_u32_e32 v15, vcc_lo, v38, v15, vcc_lo
	v_dual_mov_b32 v17, v5 :: v_dual_add_nc_u32 v16, 0x48, v4
	v_add_co_u32 v18, vcc_lo, v37, v6
	s_wait_dscnt 0x1
	global_store_b128 v[12:13], v[0:3], off
	s_wait_dscnt 0x0
	global_store_b128 v[14:15], v[8:11], off
	v_dual_mov_b32 v11, v5 :: v_dual_add_nc_u32 v10, 0x60, v4
	s_wait_alu 0xfffd
	v_add_co_ci_u32_e32 v19, vcc_lo, v38, v7, vcc_lo
	ds_load_b128 v[0:3], v36 offset:768
	ds_load_b128 v[6:9], v36 offset:1152
	v_lshlrev_b64_e32 v[20:21], 4, v[16:17]
	v_lshlrev_b64_e32 v[22:23], 4, v[10:11]
	ds_load_b128 v[10:13], v36 offset:1536
	ds_load_b128 v[14:17], v36 offset:1920
	v_dual_mov_b32 v25, v5 :: v_dual_add_nc_u32 v24, 0x78, v4
	v_dual_mov_b32 v27, v5 :: v_dual_add_nc_u32 v26, 0x90, v4
	v_add_co_u32 v20, vcc_lo, v37, v20
	s_delay_alu instid0(VALU_DEP_3)
	v_lshlrev_b64_e32 v[24:25], 4, v[24:25]
	s_wait_alu 0xfffd
	v_add_co_ci_u32_e32 v21, vcc_lo, v38, v21, vcc_lo
	v_add_co_u32 v22, vcc_lo, v37, v22
	s_wait_alu 0xfffd
	v_add_co_ci_u32_e32 v23, vcc_lo, v38, v23, vcc_lo
	v_add_co_u32 v24, vcc_lo, v37, v24
	s_wait_dscnt 0x3
	global_store_b128 v[18:19], v[0:3], off
	s_wait_dscnt 0x2
	global_store_b128 v[20:21], v[6:9], off
	v_dual_mov_b32 v3, v5 :: v_dual_add_nc_u32 v2, 0xa8, v4
	s_wait_alu 0xfffd
	v_add_co_ci_u32_e32 v25, vcc_lo, v38, v25, vcc_lo
	v_lshlrev_b64_e32 v[0:1], 4, v[26:27]
	s_wait_dscnt 0x1
	global_store_b128 v[22:23], v[10:13], off
	s_wait_dscnt 0x0
	global_store_b128 v[24:25], v[14:17], off
	v_lshlrev_b64_e32 v[10:11], 4, v[2:3]
	v_dual_mov_b32 v13, v5 :: v_dual_add_nc_u32 v12, 0xc0, v4
	v_add_co_u32 v26, vcc_lo, v37, v0
	s_wait_alu 0xfffd
	v_add_co_ci_u32_e32 v27, vcc_lo, v38, v1, vcc_lo
	s_delay_alu instid0(VALU_DEP_4)
	v_add_co_u32 v28, vcc_lo, v37, v10
	s_wait_alu 0xfffd
	v_add_co_ci_u32_e32 v29, vcc_lo, v38, v11, vcc_lo
	v_lshlrev_b64_e32 v[10:11], 4, v[12:13]
	v_dual_mov_b32 v19, v5 :: v_dual_add_nc_u32 v18, 0xd8, v4
	v_dual_mov_b32 v21, v5 :: v_dual_add_nc_u32 v20, 0xf0, v4
	ds_load_b128 v[0:3], v36 offset:2304
	ds_load_b128 v[6:9], v36 offset:2688
	v_add_co_u32 v30, vcc_lo, v37, v10
	s_wait_alu 0xfffd
	v_add_co_ci_u32_e32 v31, vcc_lo, v38, v11, vcc_lo
	ds_load_b128 v[10:13], v36 offset:3072
	ds_load_b128 v[14:17], v36 offset:3456
	v_lshlrev_b64_e32 v[32:33], 4, v[18:19]
	v_lshlrev_b64_e32 v[34:35], 4, v[20:21]
	ds_load_b128 v[18:21], v36 offset:3840
	ds_load_b128 v[22:25], v36 offset:4224
	v_add_nc_u32_e32 v4, 0x108, v4
	v_add_co_u32 v32, vcc_lo, v37, v32
	s_delay_alu instid0(VALU_DEP_2)
	v_lshlrev_b64_e32 v[4:5], 4, v[4:5]
	s_wait_alu 0xfffd
	v_add_co_ci_u32_e32 v33, vcc_lo, v38, v33, vcc_lo
	v_add_co_u32 v34, vcc_lo, v37, v34
	s_wait_alu 0xfffd
	v_add_co_ci_u32_e32 v35, vcc_lo, v38, v35, vcc_lo
	v_add_co_u32 v4, vcc_lo, v37, v4
	s_wait_alu 0xfffd
	v_add_co_ci_u32_e32 v5, vcc_lo, v38, v5, vcc_lo
	s_wait_dscnt 0x5
	global_store_b128 v[26:27], v[0:3], off
	s_wait_dscnt 0x4
	global_store_b128 v[28:29], v[6:9], off
	;; [unrolled: 2-line block ×6, first 2 shown]
.LBB0_18:
	s_nop 0
	s_sendmsg sendmsg(MSG_DEALLOC_VGPRS)
	s_endpgm
	.section	.rodata,"a",@progbits
	.p2align	6, 0x0
	.amdhsa_kernel fft_rtc_fwd_len288_factors_6_6_4_2_wgs_120_tpt_24_halfLds_dp_ip_CI_unitstride_sbrr_C2R_dirReg
		.amdhsa_group_segment_fixed_size 0
		.amdhsa_private_segment_fixed_size 0
		.amdhsa_kernarg_size 88
		.amdhsa_user_sgpr_count 2
		.amdhsa_user_sgpr_dispatch_ptr 0
		.amdhsa_user_sgpr_queue_ptr 0
		.amdhsa_user_sgpr_kernarg_segment_ptr 1
		.amdhsa_user_sgpr_dispatch_id 0
		.amdhsa_user_sgpr_private_segment_size 0
		.amdhsa_wavefront_size32 1
		.amdhsa_uses_dynamic_stack 0
		.amdhsa_enable_private_segment 0
		.amdhsa_system_sgpr_workgroup_id_x 1
		.amdhsa_system_sgpr_workgroup_id_y 0
		.amdhsa_system_sgpr_workgroup_id_z 0
		.amdhsa_system_sgpr_workgroup_info 0
		.amdhsa_system_vgpr_workitem_id 0
		.amdhsa_next_free_vgpr 94
		.amdhsa_next_free_sgpr 32
		.amdhsa_reserve_vcc 1
		.amdhsa_float_round_mode_32 0
		.amdhsa_float_round_mode_16_64 0
		.amdhsa_float_denorm_mode_32 3
		.amdhsa_float_denorm_mode_16_64 3
		.amdhsa_fp16_overflow 0
		.amdhsa_workgroup_processor_mode 1
		.amdhsa_memory_ordered 1
		.amdhsa_forward_progress 0
		.amdhsa_round_robin_scheduling 0
		.amdhsa_exception_fp_ieee_invalid_op 0
		.amdhsa_exception_fp_denorm_src 0
		.amdhsa_exception_fp_ieee_div_zero 0
		.amdhsa_exception_fp_ieee_overflow 0
		.amdhsa_exception_fp_ieee_underflow 0
		.amdhsa_exception_fp_ieee_inexact 0
		.amdhsa_exception_int_div_zero 0
	.end_amdhsa_kernel
	.text
.Lfunc_end0:
	.size	fft_rtc_fwd_len288_factors_6_6_4_2_wgs_120_tpt_24_halfLds_dp_ip_CI_unitstride_sbrr_C2R_dirReg, .Lfunc_end0-fft_rtc_fwd_len288_factors_6_6_4_2_wgs_120_tpt_24_halfLds_dp_ip_CI_unitstride_sbrr_C2R_dirReg
                                        ; -- End function
	.section	.AMDGPU.csdata,"",@progbits
; Kernel info:
; codeLenInByte = 8008
; NumSgprs: 34
; NumVgprs: 94
; ScratchSize: 0
; MemoryBound: 0
; FloatMode: 240
; IeeeMode: 1
; LDSByteSize: 0 bytes/workgroup (compile time only)
; SGPRBlocks: 4
; VGPRBlocks: 11
; NumSGPRsForWavesPerEU: 34
; NumVGPRsForWavesPerEU: 94
; Occupancy: 16
; WaveLimiterHint : 1
; COMPUTE_PGM_RSRC2:SCRATCH_EN: 0
; COMPUTE_PGM_RSRC2:USER_SGPR: 2
; COMPUTE_PGM_RSRC2:TRAP_HANDLER: 0
; COMPUTE_PGM_RSRC2:TGID_X_EN: 1
; COMPUTE_PGM_RSRC2:TGID_Y_EN: 0
; COMPUTE_PGM_RSRC2:TGID_Z_EN: 0
; COMPUTE_PGM_RSRC2:TIDIG_COMP_CNT: 0
	.text
	.p2alignl 7, 3214868480
	.fill 96, 4, 3214868480
	.type	__hip_cuid_f4d8618d8aa50206,@object ; @__hip_cuid_f4d8618d8aa50206
	.section	.bss,"aw",@nobits
	.globl	__hip_cuid_f4d8618d8aa50206
__hip_cuid_f4d8618d8aa50206:
	.byte	0                               ; 0x0
	.size	__hip_cuid_f4d8618d8aa50206, 1

	.ident	"AMD clang version 19.0.0git (https://github.com/RadeonOpenCompute/llvm-project roc-6.4.0 25133 c7fe45cf4b819c5991fe208aaa96edf142730f1d)"
	.section	".note.GNU-stack","",@progbits
	.addrsig
	.addrsig_sym __hip_cuid_f4d8618d8aa50206
	.amdgpu_metadata
---
amdhsa.kernels:
  - .args:
      - .actual_access:  read_only
        .address_space:  global
        .offset:         0
        .size:           8
        .value_kind:     global_buffer
      - .offset:         8
        .size:           8
        .value_kind:     by_value
      - .actual_access:  read_only
        .address_space:  global
        .offset:         16
        .size:           8
        .value_kind:     global_buffer
      - .actual_access:  read_only
        .address_space:  global
        .offset:         24
        .size:           8
        .value_kind:     global_buffer
      - .offset:         32
        .size:           8
        .value_kind:     by_value
      - .actual_access:  read_only
        .address_space:  global
        .offset:         40
        .size:           8
        .value_kind:     global_buffer
      - .actual_access:  read_only
        .address_space:  global
        .offset:         48
        .size:           8
        .value_kind:     global_buffer
      - .offset:         56
        .size:           4
        .value_kind:     by_value
      - .actual_access:  read_only
        .address_space:  global
        .offset:         64
        .size:           8
        .value_kind:     global_buffer
      - .actual_access:  read_only
        .address_space:  global
        .offset:         72
        .size:           8
        .value_kind:     global_buffer
      - .address_space:  global
        .offset:         80
        .size:           8
        .value_kind:     global_buffer
    .group_segment_fixed_size: 0
    .kernarg_segment_align: 8
    .kernarg_segment_size: 88
    .language:       OpenCL C
    .language_version:
      - 2
      - 0
    .max_flat_workgroup_size: 120
    .name:           fft_rtc_fwd_len288_factors_6_6_4_2_wgs_120_tpt_24_halfLds_dp_ip_CI_unitstride_sbrr_C2R_dirReg
    .private_segment_fixed_size: 0
    .sgpr_count:     34
    .sgpr_spill_count: 0
    .symbol:         fft_rtc_fwd_len288_factors_6_6_4_2_wgs_120_tpt_24_halfLds_dp_ip_CI_unitstride_sbrr_C2R_dirReg.kd
    .uniform_work_group_size: 1
    .uses_dynamic_stack: false
    .vgpr_count:     94
    .vgpr_spill_count: 0
    .wavefront_size: 32
    .workgroup_processor_mode: 1
amdhsa.target:   amdgcn-amd-amdhsa--gfx1201
amdhsa.version:
  - 1
  - 2
...

	.end_amdgpu_metadata
